;; amdgpu-corpus repo=ROCm/rocFFT kind=compiled arch=gfx1030 opt=O3
	.text
	.amdgcn_target "amdgcn-amd-amdhsa--gfx1030"
	.amdhsa_code_object_version 6
	.protected	fft_rtc_fwd_len240_factors_8_5_6_wgs_384_tpt_48_half_op_CI_CI_sbcc_twdbase8_3step ; -- Begin function fft_rtc_fwd_len240_factors_8_5_6_wgs_384_tpt_48_half_op_CI_CI_sbcc_twdbase8_3step
	.globl	fft_rtc_fwd_len240_factors_8_5_6_wgs_384_tpt_48_half_op_CI_CI_sbcc_twdbase8_3step
	.p2align	8
	.type	fft_rtc_fwd_len240_factors_8_5_6_wgs_384_tpt_48_half_op_CI_CI_sbcc_twdbase8_3step,@function
fft_rtc_fwd_len240_factors_8_5_6_wgs_384_tpt_48_half_op_CI_CI_sbcc_twdbase8_3step: ; @fft_rtc_fwd_len240_factors_8_5_6_wgs_384_tpt_48_half_op_CI_CI_sbcc_twdbase8_3step
; %bb.0:
	s_clause 0x1
	s_load_dwordx4 s[20:23], s[4:5], 0x18
	s_load_dwordx2 s[30:31], s[4:5], 0x28
	s_mov_b32 s7, 0
	s_mov_b64 s[24:25], 0
	s_waitcnt lgkmcnt(0)
	s_load_dwordx2 s[28:29], s[20:21], 0x8
	s_waitcnt lgkmcnt(0)
	s_add_u32 s0, s28, -1
	s_addc_u32 s1, s29, -1
	s_lshr_b64 s[0:1], s[0:1], 3
	s_add_u32 s34, s0, 1
	s_addc_u32 s35, s1, 0
	v_cmp_lt_u64_e64 s0, s[6:7], s[34:35]
	s_and_b32 vcc_lo, exec_lo, s0
	s_cbranch_vccnz .LBB0_2
; %bb.1:
	v_cvt_f32_u32_e32 v1, s34
	s_sub_i32 s1, 0, s34
	s_mov_b32 s25, s7
	v_rcp_iflag_f32_e32 v1, v1
	v_mul_f32_e32 v1, 0x4f7ffffe, v1
	v_cvt_u32_f32_e32 v1, v1
	v_readfirstlane_b32 s0, v1
	s_mul_i32 s1, s1, s0
	s_mul_hi_u32 s1, s0, s1
	s_add_i32 s0, s0, s1
	s_mul_hi_u32 s0, s6, s0
	s_mul_i32 s1, s0, s34
	s_add_i32 s2, s0, 1
	s_sub_i32 s1, s6, s1
	s_sub_i32 s3, s1, s34
	s_cmp_ge_u32 s1, s34
	s_cselect_b32 s0, s2, s0
	s_cselect_b32 s1, s3, s1
	s_add_i32 s2, s0, 1
	s_cmp_ge_u32 s1, s34
	s_cselect_b32 s24, s2, s0
.LBB0_2:
	s_load_dwordx4 s[16:19], s[22:23], 0x0
	s_load_dwordx4 s[0:3], s[30:31], 0x0
	s_load_dwordx4 s[12:15], s[4:5], 0x8
	s_mul_i32 s8, s24, s35
	s_mul_hi_u32 s9, s24, s34
	s_mul_i32 s10, s24, s34
	s_add_i32 s9, s9, s8
	s_sub_u32 s36, s6, s10
	s_subb_u32 s37, 0, s9
	s_clause 0x1
	s_load_dwordx2 s[26:27], s[4:5], 0x0
	s_load_dwordx4 s[8:11], s[4:5], 0x60
	v_alignbit_b32 v1, s37, s36, 29
	s_lshl_b64 s[4:5], s[36:37], 3
	s_waitcnt lgkmcnt(0)
	v_mul_lo_u32 v2, s18, v1
	v_mul_lo_u32 v1, s2, v1
	s_mul_hi_u32 s33, s18, s4
	s_mul_hi_u32 s38, s2, s4
	v_cmp_lt_u64_e64 s40, s[14:15], 3
	s_mul_i32 s36, s19, s4
	s_mul_i32 s37, s18, s4
	;; [unrolled: 1-line block ×3, first 2 shown]
	v_add_nc_u32_e32 v2, s33, v2
	v_add_nc_u32_e32 v5, s38, v1
	s_mul_i32 s33, s2, s4
	v_mov_b32_e32 v3, s37
	v_mov_b32_e32 v1, s33
	v_add_nc_u32_e32 v4, s36, v2
	v_add_nc_u32_e32 v2, s39, v5
	s_and_b32 vcc_lo, exec_lo, s40
	s_cbranch_vccnz .LBB0_11
; %bb.3:
	s_add_u32 s36, s30, 16
	s_addc_u32 s37, s31, 0
	s_add_u32 s38, s22, 16
	s_addc_u32 s39, s23, 0
	;; [unrolled: 2-line block ×3, first 2 shown]
	s_mov_b64 s[40:41], 2
	s_mov_b32 s42, 0
	s_branch .LBB0_5
.LBB0_4:                                ;   in Loop: Header=BB0_5 Depth=1
	s_load_dwordx2 s[48:49], s[38:39], 0x0
	s_load_dwordx2 s[50:51], s[36:37], 0x0
	s_mul_i32 s33, s44, s35
	s_mul_hi_u32 s35, s44, s34
	s_mul_i32 s43, s45, s34
	s_mul_i32 s45, s46, s45
	s_mul_hi_u32 s52, s46, s44
	s_mul_i32 s53, s47, s44
	s_add_i32 s33, s35, s33
	s_add_i32 s45, s52, s45
	s_mul_i32 s54, s46, s44
	s_add_i32 s35, s33, s43
	s_add_i32 s45, s45, s53
	s_sub_u32 s24, s24, s54
	s_subb_u32 s25, s25, s45
	s_mul_i32 s34, s44, s34
	s_waitcnt lgkmcnt(0)
	s_mul_i32 s33, s48, s25
	s_mul_hi_u32 s43, s48, s24
	s_mul_i32 s45, s48, s24
	s_mul_i32 s25, s50, s25
	s_mul_hi_u32 s48, s50, s24
	s_mul_i32 s44, s49, s24
	s_add_i32 s33, s43, s33
	s_add_i32 s25, s48, s25
	s_mul_i32 s43, s51, s24
	s_add_i32 s33, s33, s44
	s_add_i32 s25, s25, s43
	v_add_co_u32 v3, vcc_lo, s45, v3
	s_add_u32 s40, s40, 1
	s_mul_i32 s24, s50, s24
	s_addc_u32 s41, s41, 0
	v_add_co_ci_u32_e32 v4, vcc_lo, s33, v4, vcc_lo
	v_add_co_u32 v1, vcc_lo, s24, v1
	v_cmp_ge_u64_e64 s24, s[40:41], s[14:15]
	s_add_u32 s36, s36, 8
	s_addc_u32 s37, s37, 0
	v_add_co_ci_u32_e32 v2, vcc_lo, s25, v2, vcc_lo
	s_add_u32 s38, s38, 8
	s_addc_u32 s39, s39, 0
	s_add_u32 s20, s20, 8
	s_addc_u32 s21, s21, 0
	s_and_b32 vcc_lo, exec_lo, s24
	s_mov_b64 s[24:25], s[46:47]
	s_cbranch_vccnz .LBB0_9
.LBB0_5:                                ; =>This Inner Loop Header: Depth=1
	s_load_dwordx2 s[44:45], s[20:21], 0x0
	s_mov_b32 s33, -1
	s_waitcnt lgkmcnt(0)
	s_or_b64 s[46:47], s[24:25], s[44:45]
	s_mov_b32 s43, s47
                                        ; implicit-def: $sgpr46_sgpr47
	s_cmp_lg_u64 s[42:43], 0
	s_cbranch_scc0 .LBB0_7
; %bb.6:                                ;   in Loop: Header=BB0_5 Depth=1
	v_cvt_f32_u32_e32 v5, s44
	v_cvt_f32_u32_e32 v6, s45
	s_sub_u32 s46, 0, s44
	s_subb_u32 s47, 0, s45
	v_fmac_f32_e32 v5, 0x4f800000, v6
	v_rcp_f32_e32 v5, v5
	v_mul_f32_e32 v5, 0x5f7ffffc, v5
	v_mul_f32_e32 v6, 0x2f800000, v5
	v_trunc_f32_e32 v6, v6
	v_fmac_f32_e32 v5, 0xcf800000, v6
	v_cvt_u32_f32_e32 v6, v6
	v_cvt_u32_f32_e32 v5, v5
	v_readfirstlane_b32 s33, v6
	v_readfirstlane_b32 s43, v5
	s_mul_i32 s48, s46, s33
	s_mul_hi_u32 s50, s46, s43
	s_mul_i32 s49, s47, s43
	s_add_i32 s48, s50, s48
	s_mul_i32 s51, s46, s43
	s_add_i32 s48, s48, s49
	s_mul_hi_u32 s50, s43, s51
	s_mul_hi_u32 s52, s33, s51
	s_mul_i32 s49, s33, s51
	s_mul_hi_u32 s51, s43, s48
	s_mul_i32 s43, s43, s48
	s_mul_hi_u32 s53, s33, s48
	s_add_u32 s43, s50, s43
	s_addc_u32 s50, 0, s51
	s_add_u32 s43, s43, s49
	s_mul_i32 s48, s33, s48
	s_addc_u32 s43, s50, s52
	s_addc_u32 s49, s53, 0
	s_add_u32 s43, s43, s48
	s_addc_u32 s48, 0, s49
	v_add_co_u32 v5, s43, v5, s43
	s_cmp_lg_u32 s43, 0
	s_addc_u32 s33, s33, s48
	v_readfirstlane_b32 s43, v5
	s_mul_i32 s48, s46, s33
	s_mul_hi_u32 s49, s46, s43
	s_mul_i32 s47, s47, s43
	s_add_i32 s48, s49, s48
	s_mul_i32 s46, s46, s43
	s_add_i32 s48, s48, s47
	s_mul_hi_u32 s49, s33, s46
	s_mul_i32 s50, s33, s46
	s_mul_hi_u32 s46, s43, s46
	s_mul_hi_u32 s51, s43, s48
	s_mul_i32 s43, s43, s48
	s_mul_hi_u32 s47, s33, s48
	s_add_u32 s43, s46, s43
	s_addc_u32 s46, 0, s51
	s_add_u32 s43, s43, s50
	s_mul_i32 s48, s33, s48
	s_addc_u32 s43, s46, s49
	s_addc_u32 s46, s47, 0
	s_add_u32 s43, s43, s48
	s_addc_u32 s46, 0, s46
	v_add_co_u32 v5, s43, v5, s43
	s_cmp_lg_u32 s43, 0
	s_addc_u32 s33, s33, s46
	v_readfirstlane_b32 s43, v5
	s_mul_i32 s47, s24, s33
	s_mul_hi_u32 s46, s24, s33
	s_mul_hi_u32 s48, s25, s33
	s_mul_i32 s33, s25, s33
	s_mul_hi_u32 s49, s24, s43
	s_mul_hi_u32 s50, s25, s43
	s_mul_i32 s43, s25, s43
	s_add_u32 s47, s49, s47
	s_addc_u32 s46, 0, s46
	s_add_u32 s43, s47, s43
	s_addc_u32 s43, s46, s50
	s_addc_u32 s46, s48, 0
	s_add_u32 s43, s43, s33
	s_addc_u32 s46, 0, s46
	s_mul_hi_u32 s33, s44, s43
	s_mul_i32 s48, s44, s46
	s_mul_i32 s49, s44, s43
	s_add_i32 s33, s33, s48
	v_sub_co_u32 v5, s48, s24, s49
	s_mul_i32 s47, s45, s43
	s_add_i32 s33, s33, s47
	v_sub_co_u32 v6, s49, v5, s44
	s_sub_i32 s47, s25, s33
	s_cmp_lg_u32 s48, 0
	s_subb_u32 s47, s47, s45
	s_cmp_lg_u32 s49, 0
	v_readfirstlane_b32 s49, v6
	s_subb_u32 s47, s47, 0
	s_cmp_ge_u32 s47, s45
	s_cselect_b32 s50, -1, 0
	s_cmp_ge_u32 s49, s44
	s_cselect_b32 s49, -1, 0
	s_cmp_eq_u32 s47, s45
	s_cselect_b32 s47, s49, s50
	s_add_u32 s49, s43, 1
	s_addc_u32 s50, s46, 0
	s_add_u32 s51, s43, 2
	s_addc_u32 s52, s46, 0
	s_cmp_lg_u32 s47, 0
	s_cselect_b32 s49, s51, s49
	s_cselect_b32 s47, s52, s50
	s_cmp_lg_u32 s48, 0
	v_readfirstlane_b32 s48, v5
	s_subb_u32 s33, s25, s33
	s_cmp_ge_u32 s33, s45
	s_cselect_b32 s50, -1, 0
	s_cmp_ge_u32 s48, s44
	s_cselect_b32 s48, -1, 0
	s_cmp_eq_u32 s33, s45
	s_cselect_b32 s33, s48, s50
	s_cmp_lg_u32 s33, 0
	s_mov_b32 s33, 0
	s_cselect_b32 s47, s47, s46
	s_cselect_b32 s46, s49, s43
.LBB0_7:                                ;   in Loop: Header=BB0_5 Depth=1
	s_andn2_b32 vcc_lo, exec_lo, s33
	s_cbranch_vccnz .LBB0_4
; %bb.8:                                ;   in Loop: Header=BB0_5 Depth=1
	v_cvt_f32_u32_e32 v5, s44
	s_sub_i32 s43, 0, s44
	v_rcp_iflag_f32_e32 v5, v5
	v_mul_f32_e32 v5, 0x4f7ffffe, v5
	v_cvt_u32_f32_e32 v5, v5
	v_readfirstlane_b32 s33, v5
	s_mul_i32 s43, s43, s33
	s_mul_hi_u32 s43, s33, s43
	s_add_i32 s33, s33, s43
	s_mul_hi_u32 s33, s24, s33
	s_mul_i32 s43, s33, s44
	s_add_i32 s46, s33, 1
	s_sub_i32 s43, s24, s43
	s_sub_i32 s47, s43, s44
	s_cmp_ge_u32 s43, s44
	s_cselect_b32 s33, s46, s33
	s_cselect_b32 s43, s47, s43
	s_add_i32 s46, s33, 1
	s_cmp_ge_u32 s43, s44
	s_mov_b32 s47, s42
	s_cselect_b32 s46, s46, s33
	s_branch .LBB0_4
.LBB0_9:
	v_cmp_lt_u64_e64 s7, s[6:7], s[34:35]
	s_mov_b64 s[24:25], 0
	s_and_b32 vcc_lo, exec_lo, s7
	s_cbranch_vccnz .LBB0_11
; %bb.10:
	v_cvt_f32_u32_e32 v5, s34
	s_sub_i32 s20, 0, s34
	v_rcp_iflag_f32_e32 v5, v5
	v_mul_f32_e32 v5, 0x4f7ffffe, v5
	v_cvt_u32_f32_e32 v5, v5
	v_readfirstlane_b32 s7, v5
	s_mul_i32 s20, s20, s7
	s_mul_hi_u32 s20, s7, s20
	s_add_i32 s7, s7, s20
	s_mul_hi_u32 s7, s6, s7
	s_mul_i32 s20, s7, s34
	s_sub_i32 s6, s6, s20
	s_add_i32 s20, s7, 1
	s_sub_i32 s21, s6, s34
	s_cmp_ge_u32 s6, s34
	s_cselect_b32 s7, s20, s7
	s_cselect_b32 s6, s21, s6
	s_add_i32 s20, s7, 1
	s_cmp_ge_u32 s6, s34
	s_cselect_b32 s24, s20, s7
.LBB0_11:
	v_and_b32_e32 v11, 7, v0
	s_lshl_b64 s[14:15], s[14:15], 3
	v_mov_b32_e32 v6, s5
	s_add_u32 s6, s30, s14
	s_addc_u32 s7, s31, s15
	v_or_b32_e32 v5, s4, v11
	s_add_u32 s20, s4, 8
	v_lshrrev_b32_e32 v12, 3, v0
	s_addc_u32 s21, s5, 0
	v_mul_u32_u24_e32 v13, 0x3c0, v11
	v_cmp_le_u64_e64 s5, s[20:21], s[28:29]
	v_cmp_gt_u64_e32 vcc_lo, s[28:29], v[5:6]
	v_lshlrev_b32_e32 v14, 2, v12
	v_add_nc_u32_e32 v10, 48, v12
	v_add_nc_u32_e32 v9, 0x60, v12
	;; [unrolled: 1-line block ×4, first 2 shown]
	s_or_b32 s5, s5, vcc_lo
	s_and_saveexec_b32 s20, s5
	s_cbranch_execz .LBB0_13
; %bb.12:
	s_add_u32 s14, s22, s14
	s_addc_u32 s15, s23, s15
	v_mad_u64_u32 v[5:6], null, s18, v11, 0
	s_load_dwordx2 s[14:15], s[14:15], 0x0
	v_mad_u64_u32 v[15:16], null, s16, v12, 0
	v_mad_u64_u32 v[17:18], null, s16, v10, 0
	v_lshlrev_b64 v[3:4], 2, v[3:4]
	v_mad_u64_u32 v[19:20], null, s19, v11, v[6:7]
	v_mad_u64_u32 v[23:24], null, s16, v7, 0
	;; [unrolled: 1-line block ×4, first 2 shown]
	v_mov_b32_e32 v6, v19
	v_mad_u64_u32 v[18:19], null, s17, v10, v[18:19]
	v_mov_b32_e32 v16, v20
	s_waitcnt lgkmcnt(0)
	s_mul_i32 s15, s15, s24
	s_mul_hi_u32 s18, s14, s24
	s_mul_i32 s14, s14, s24
	s_add_i32 s15, s18, s15
	v_lshlrev_b64 v[5:6], 2, v[5:6]
	s_lshl_b64 s[14:15], s[14:15], 2
	v_mad_u64_u32 v[19:20], null, s16, v8, 0
	s_add_u32 s8, s8, s14
	s_addc_u32 s9, s9, s15
	v_add_co_u32 v25, vcc_lo, s8, v3
	v_mov_b32_e32 v3, v22
	v_add_co_ci_u32_e32 v26, vcc_lo, s9, v4, vcc_lo
	v_add_co_u32 v25, vcc_lo, v25, v5
	v_mad_u64_u32 v[3:4], null, s17, v9, v[3:4]
	v_add_co_ci_u32_e32 v26, vcc_lo, v26, v6, vcc_lo
	v_lshlrev_b64 v[5:6], 2, v[15:16]
	v_mov_b32_e32 v4, v20
	v_lshlrev_b64 v[15:16], 2, v[17:18]
	v_mov_b32_e32 v22, v3
	v_mad_u64_u32 v[3:4], null, s17, v8, v[4:5]
	v_mov_b32_e32 v4, v24
	v_add_co_u32 v5, vcc_lo, v25, v5
	v_add_co_ci_u32_e32 v6, vcc_lo, v26, v6, vcc_lo
	v_lshlrev_b64 v[21:22], 2, v[21:22]
	v_mad_u64_u32 v[17:18], null, s17, v7, v[4:5]
	v_mov_b32_e32 v20, v3
	v_add_co_u32 v3, vcc_lo, v25, v15
	v_add_co_ci_u32_e32 v4, vcc_lo, v26, v16, vcc_lo
	v_lshlrev_b64 v[15:16], 2, v[19:20]
	v_mov_b32_e32 v24, v17
	v_add_co_u32 v17, vcc_lo, v25, v21
	v_add_co_ci_u32_e32 v18, vcc_lo, v26, v22, vcc_lo
	v_lshlrev_b64 v[19:20], 2, v[23:24]
	v_add_co_u32 v15, vcc_lo, v25, v15
	v_add_co_ci_u32_e32 v16, vcc_lo, v26, v16, vcc_lo
	v_add_co_u32 v19, vcc_lo, v25, v19
	v_add_co_ci_u32_e32 v20, vcc_lo, v26, v20, vcc_lo
	s_clause 0x4
	global_load_dword v5, v[5:6], off
	global_load_dword v3, v[3:4], off
	;; [unrolled: 1-line block ×5, first 2 shown]
	v_add3_u32 v16, 0, v13, v14
	s_waitcnt vmcnt(3)
	ds_write2_b32 v16, v5, v3 offset1:48
	s_waitcnt vmcnt(1)
	ds_write2_b32 v16, v4, v6 offset0:96 offset1:144
	s_waitcnt vmcnt(0)
	ds_write_b32 v16, v15 offset:768
.LBB0_13:
	s_or_b32 exec_lo, exec_lo, s20
	v_mov_b32_e32 v3, 0xaaab
	s_waitcnt lgkmcnt(0)
	s_barrier
	buffer_gl0_inv
	s_mov_b32 s8, exec_lo
	v_mul_u32_u24_sdwa v3, v0, v3 dst_sel:DWORD dst_unused:UNUSED_PAD src0_sel:WORD_0 src1_sel:DWORD
	v_lshrrev_b32_e32 v24, 21, v3
	v_mul_lo_u16 v3, v24, 48
	v_sub_nc_u16 v32, v0, v3
	v_and_b32_e32 v0, 7, v24
	v_mov_b32_e32 v3, 2
	v_and_b32_e32 v25, 0xffff, v32
	v_mul_lo_u16 v0, 0xf0, v0
	v_lshlrev_b32_e32 v4, 2, v25
	v_lshlrev_b32_sdwa v19, v3, v0 dst_sel:DWORD dst_unused:UNUSED_PAD src0_sel:DWORD src1_sel:WORD_0
	v_add_nc_u32_e32 v18, 0, v4
	v_add3_u32 v15, 0, v19, v4
	v_add_nc_u32_e32 v0, v18, v19
	ds_read2_b32 v[3:4], v0 offset0:30 offset1:60
	ds_read2_b32 v[5:6], v0 offset0:90 offset1:120
	ds_read_b32 v20, v15
	ds_read2_b32 v[16:17], v0 offset0:150 offset1:180
	ds_read_b32 v22, v0 offset:840
	s_waitcnt lgkmcnt(0)
	s_barrier
	buffer_gl0_inv
	v_pk_add_f16 v26, v20, v6 neg_lo:[0,1] neg_hi:[0,1]
	v_pk_add_f16 v21, v3, v16 neg_lo:[0,1] neg_hi:[0,1]
	;; [unrolled: 1-line block ×4, first 2 shown]
	v_lshrrev_b32_e32 v16, 16, v26
	v_lshrrev_b32_e32 v17, 16, v21
	v_sub_f16_sdwa v28, v26, v27 dst_sel:DWORD dst_unused:UNUSED_PAD src0_sel:DWORD src1_sel:WORD_1
	v_sub_f16_sdwa v30, v21, v22 dst_sel:DWORD dst_unused:UNUSED_PAD src0_sel:DWORD src1_sel:WORD_1
	v_add_f16_e32 v6, v16, v27
	v_add_f16_e32 v31, v17, v22
	v_fma_f16 v29, v26, 2.0, -v28
	v_fma_f16 v33, v21, 2.0, -v30
	;; [unrolled: 1-line block ×4, first 2 shown]
	v_fmamk_f16 v16, v33, 0xb9a8, v29
	v_fmamk_f16 v17, v34, 0xb9a8, v23
	v_fmac_f16_e32 v16, 0xb9a8, v34
	v_fmac_f16_e32 v17, 0x39a8, v33
	v_cmpx_gt_u16_e32 30, v32
	s_cbranch_execz .LBB0_15
; %bb.14:
	v_pk_fma_f16 v20, v20, 2.0, v26 op_sel_hi:[1,0,1] neg_lo:[0,0,1] neg_hi:[0,0,1]
	v_pk_fma_f16 v4, v4, 2.0, v27 op_sel_hi:[1,0,1] neg_lo:[0,0,1] neg_hi:[0,0,1]
	;; [unrolled: 1-line block ×4, first 2 shown]
	v_fmamk_f16 v32, v30, 0x39a8, v28
	v_fmamk_f16 v26, v31, 0x39a8, v6
	v_pk_add_f16 v4, v20, v4 neg_lo:[0,1] neg_hi:[0,1]
	v_fma_f16 v27, v29, 2.0, -v16
	v_pk_add_f16 v5, v3, v5 neg_lo:[0,1] neg_hi:[0,1]
	v_fmac_f16_e32 v32, 0xb9a8, v31
	v_fmac_f16_e32 v26, 0x39a8, v30
	v_lshrrev_b32_e32 v22, 16, v4
	v_pk_fma_f16 v20, v20, 2.0, v4 op_sel_hi:[1,0,1] neg_lo:[0,0,1] neg_hi:[0,0,1]
	v_pk_fma_f16 v3, v3, 2.0, v5 op_sel_hi:[1,0,1] neg_lo:[0,0,1] neg_hi:[0,0,1]
	v_fma_f16 v21, v28, 2.0, -v32
	v_sub_f16_sdwa v28, v4, v5 dst_sel:DWORD dst_unused:UNUSED_PAD src0_sel:DWORD src1_sel:WORD_1
	v_add_f16_e32 v5, v22, v5
	v_fma_f16 v23, v23, 2.0, -v17
	v_mul_u32_u24_e32 v29, 28, v25
	v_pk_add_f16 v3, v20, v3 neg_lo:[0,1] neg_hi:[0,1]
	v_fma_f16 v4, v4, 2.0, -v28
	v_fma_f16 v22, v22, 2.0, -v5
	;; [unrolled: 1-line block ×3, first 2 shown]
	v_add3_u32 v18, v18, v29, v19
	v_pk_fma_f16 v20, v20, 2.0, v3 op_sel_hi:[1,0,1] neg_lo:[0,0,1] neg_hi:[0,0,1]
	v_pack_b32_f16 v23, v27, v23
	v_pack_b32_f16 v4, v4, v22
	;; [unrolled: 1-line block ×3, first 2 shown]
	v_perm_b32 v21, v17, v16, 0x5040100
	v_pack_b32_f16 v5, v28, v5
	v_pack_b32_f16 v22, v32, v26
	ds_write2_b32 v18, v20, v23 offset1:1
	ds_write2_b32 v18, v4, v6 offset0:2 offset1:3
	ds_write2_b32 v18, v3, v21 offset0:4 offset1:5
	;; [unrolled: 1-line block ×3, first 2 shown]
.LBB0_15:
	s_or_b32 exec_lo, exec_lo, s8
	v_and_b32_e32 v3, 7, v25
	s_load_dwordx2 s[6:7], s[6:7], 0x0
	s_waitcnt lgkmcnt(0)
	s_barrier
	buffer_gl0_inv
	v_lshlrev_b32_e32 v4, 4, v3
	v_lshrrev_b32_e32 v6, 3, v25
	v_cmp_gt_u16_e32 vcc_lo, 40, v25
	global_load_dwordx4 v[20:23], v4, s[26:27]
	ds_read2_b32 v[4:5], v0 offset0:48 offset1:96
	ds_read2_b32 v[26:27], v0 offset0:144 offset1:192
	v_mul_u32_u24_e32 v6, 40, v6
	v_or_b32_e32 v6, v6, v3
	ds_read_b32 v3, v15
	ds_read_u16 v18, v15 offset:2
	s_waitcnt vmcnt(0) lgkmcnt(0)
	s_barrier
	buffer_gl0_inv
	v_lshlrev_b32_e32 v6, 2, v6
	v_add3_u32 v32, 0, v6, v19
	v_lshrrev_b32_e32 v28, 16, v4
	v_lshrrev_b32_e32 v29, 16, v5
	;; [unrolled: 1-line block ×4, first 2 shown]
	v_mul_f16_sdwa v6, v20, v28 dst_sel:DWORD dst_unused:UNUSED_PAD src0_sel:WORD_1 src1_sel:DWORD
	v_mul_f16_sdwa v19, v20, v4 dst_sel:DWORD dst_unused:UNUSED_PAD src0_sel:WORD_1 src1_sel:DWORD
	;; [unrolled: 1-line block ×8, first 2 shown]
	v_fma_f16 v4, v20, v4, -v6
	v_fmac_f16_e32 v19, v20, v28
	v_fma_f16 v5, v21, v5, -v33
	v_fmac_f16_e32 v34, v21, v29
	;; [unrolled: 2-line block ×3, first 2 shown]
	v_fmac_f16_e32 v38, v23, v31
	v_fma_f16 v22, v23, v27, -v37
	v_add_f16_e32 v20, v4, v3
	v_add_f16_e32 v21, v5, v6
	;; [unrolled: 1-line block ×6, first 2 shown]
	v_sub_f16_e32 v26, v19, v38
	v_sub_f16_e32 v23, v4, v5
	;; [unrolled: 1-line block ×9, first 2 shown]
	v_add_f16_e32 v5, v20, v5
	v_fma_f16 v4, -0.5, v21, v3
	v_add_f16_e32 v20, v33, v34
	v_fma_f16 v21, -0.5, v35, v18
	v_sub_f16_e32 v27, v34, v36
	v_sub_f16_e32 v28, v22, v6
	v_fmac_f16_e32 v3, -0.5, v29
	v_fmac_f16_e32 v18, -0.5, v42
	v_sub_f16_e32 v41, v38, v36
	v_add_f16_e32 v29, v30, v31
	v_add_f16_e32 v31, v19, v43
	;; [unrolled: 1-line block ×3, first 2 shown]
	v_fmamk_f16 v5, v26, 0x3b9c, v4
	v_add_f16_e32 v33, v20, v36
	v_fmamk_f16 v20, v37, 0xbb9c, v21
	v_add_f16_e32 v28, v23, v28
	v_fmamk_f16 v6, v27, 0xbb9c, v3
	v_fmac_f16_e32 v3, 0x3b9c, v27
	v_fmamk_f16 v23, v39, 0x3b9c, v18
	v_fmac_f16_e32 v18, 0xbb9c, v39
	v_fmac_f16_e32 v4, 0xbb9c, v26
	;; [unrolled: 1-line block ×3, first 2 shown]
	v_add_f16_e32 v30, v40, v41
	v_fmac_f16_e32 v5, 0x38b4, v27
	v_fmac_f16_e32 v20, 0xb8b4, v39
	;; [unrolled: 1-line block ×8, first 2 shown]
	v_add_f16_e32 v19, v19, v22
	v_add_f16_e32 v22, v33, v38
	v_fmac_f16_e32 v5, 0x34f2, v28
	v_fmac_f16_e32 v20, 0x34f2, v30
	;; [unrolled: 1-line block ×8, first 2 shown]
	v_pack_b32_f16 v26, v19, v22
	v_pack_b32_f16 v27, v5, v20
	;; [unrolled: 1-line block ×5, first 2 shown]
	ds_write2_b32 v32, v26, v27 offset1:8
	ds_write2_b32 v32, v28, v29 offset0:16 offset1:24
	ds_write_b32 v32, v30 offset:128
	s_waitcnt lgkmcnt(0)
	s_barrier
	buffer_gl0_inv
	s_and_saveexec_b32 s8, vcc_lo
	s_cbranch_execz .LBB0_17
; %bb.16:
	ds_read2_b32 v[5:6], v0 offset0:40 offset1:80
	ds_read2_b32 v[3:4], v0 offset0:120 offset1:160
	ds_read_b32 v16, v0 offset:800
	ds_read_b32 v19, v15
	s_waitcnt lgkmcnt(3)
	v_lshrrev_b32_e32 v20, 16, v5
	v_lshrrev_b32_e32 v23, 16, v6
	s_waitcnt lgkmcnt(2)
	v_lshrrev_b32_e32 v18, 16, v3
	v_lshrrev_b32_e32 v21, 16, v4
	s_waitcnt lgkmcnt(1)
	v_lshrrev_b32_e32 v17, 16, v16
	s_waitcnt lgkmcnt(0)
	v_lshrrev_b32_e32 v22, 16, v19
.LBB0_17:
	s_or_b32 exec_lo, exec_lo, s8
	v_subrev_nc_u32_e32 v26, 40, v25
	v_add_nc_u32_sdwa v24, s4, v24 dst_sel:DWORD dst_unused:UNUSED_PAD src0_sel:DWORD src1_sel:WORD_0
	v_mov_b32_e32 v30, 2
	v_cndmask_b32_e32 v42, v26, v25, vcc_lo
	v_add_nc_u32_e32 v26, 40, v42
	v_mul_lo_u32 v25, v24, v42
	v_add_nc_u32_e32 v27, 0x50, v42
	v_add_nc_u32_e32 v28, 0x78, v42
	;; [unrolled: 1-line block ×3, first 2 shown]
	v_mul_lo_u32 v26, v24, v26
	v_add_nc_u32_e32 v29, 0xa0, v42
	v_mul_lo_u32 v27, v24, v27
	v_mul_lo_u32 v33, v24, v28
	v_bfe_u32 v28, v25, 16, 8
	v_mul_lo_u32 v35, v24, v31
	v_mul_lo_u32 v34, v24, v29
	v_lshlrev_b32_sdwa v24, v30, v25 dst_sel:DWORD dst_unused:UNUSED_PAD src0_sel:DWORD src1_sel:BYTE_0
	v_bfe_u32 v31, v26, 16, 8
	v_lshlrev_b32_sdwa v25, v30, v25 dst_sel:DWORD dst_unused:UNUSED_PAD src0_sel:DWORD src1_sel:BYTE_1
	v_lshl_or_b32 v28, v28, 2, 0x800
	v_lshlrev_b32_sdwa v29, v30, v26 dst_sel:DWORD dst_unused:UNUSED_PAD src0_sel:DWORD src1_sel:BYTE_0
	v_lshlrev_b32_sdwa v32, v30, v26 dst_sel:DWORD dst_unused:UNUSED_PAD src0_sel:DWORD src1_sel:BYTE_1
	v_lshlrev_b32_sdwa v36, v30, v27 dst_sel:DWORD dst_unused:UNUSED_PAD src0_sel:DWORD src1_sel:BYTE_0
	v_lshl_or_b32 v31, v31, 2, 0x800
	v_lshlrev_b32_sdwa v37, v30, v27 dst_sel:DWORD dst_unused:UNUSED_PAD src0_sel:DWORD src1_sel:BYTE_1
	v_bfe_u32 v38, v27, 16, 8
	s_clause 0x7
	global_load_dword v26, v24, s[12:13]
	global_load_dword v27, v25, s[12:13] offset:1024
	global_load_dword v24, v28, s[12:13]
	global_load_dword v28, v29, s[12:13]
	global_load_dword v29, v32, s[12:13] offset:1024
	global_load_dword v25, v31, s[12:13]
	global_load_dword v31, v36, s[12:13]
	global_load_dword v32, v37, s[12:13] offset:1024
	v_bfe_u32 v36, v33, 16, 8
	v_bfe_u32 v39, v34, 16, 8
	v_lshlrev_b32_sdwa v41, v30, v34 dst_sel:DWORD dst_unused:UNUSED_PAD src0_sel:DWORD src1_sel:BYTE_0
	v_lshl_or_b32 v37, v38, 2, 0x800
	v_lshlrev_b32_sdwa v38, v30, v33 dst_sel:DWORD dst_unused:UNUSED_PAD src0_sel:DWORD src1_sel:BYTE_0
	v_lshl_or_b32 v40, v36, 2, 0x800
	v_bfe_u32 v36, v35, 16, 8
	v_lshlrev_b32_sdwa v33, v30, v33 dst_sel:DWORD dst_unused:UNUSED_PAD src0_sel:DWORD src1_sel:BYTE_1
	v_lshlrev_b32_sdwa v34, v30, v34 dst_sel:DWORD dst_unused:UNUSED_PAD src0_sel:DWORD src1_sel:BYTE_1
	v_lshlrev_b32_sdwa v44, v30, v35 dst_sel:DWORD dst_unused:UNUSED_PAD src0_sel:DWORD src1_sel:BYTE_0
	v_lshlrev_b32_sdwa v35, v30, v35 dst_sel:DWORD dst_unused:UNUSED_PAD src0_sel:DWORD src1_sel:BYTE_1
	v_lshl_or_b32 v43, v39, 2, 0x800
	v_lshl_or_b32 v45, v36, 2, 0x800
	s_clause 0x9
	global_load_dword v30, v37, s[12:13]
	global_load_dword v36, v38, s[12:13]
	global_load_dword v37, v33, s[12:13] offset:1024
	global_load_dword v33, v40, s[12:13]
	global_load_dword v38, v41, s[12:13]
	global_load_dword v39, v34, s[12:13] offset:1024
	;; [unrolled: 3-line block ×3, first 2 shown]
	global_load_dword v35, v45, s[12:13]
	s_waitcnt vmcnt(0)
	s_barrier
	buffer_gl0_inv
	s_and_saveexec_b32 s4, vcc_lo
	s_cbranch_execz .LBB0_19
; %bb.18:
	v_mul_i32_i24_e32 v42, 5, v42
	v_mov_b32_e32 v43, 0
	v_lshrrev_b32_e32 v52, 16, v40
	v_mul_f16_sdwa v53, v40, v41 dst_sel:DWORD dst_unused:UNUSED_PAD src0_sel:DWORD src1_sel:WORD_1
	v_lshrrev_b32_e32 v48, 16, v28
	v_lshrrev_b32_e32 v49, 16, v31
	v_lshlrev_b64 v[42:43], 2, v[42:43]
	v_lshrrev_b32_e32 v50, 16, v36
	v_lshrrev_b32_e32 v51, 16, v38
	v_mul_f16_sdwa v54, v38, v39 dst_sel:DWORD dst_unused:UNUSED_PAD src0_sel:DWORD src1_sel:WORD_1
	v_mul_f16_sdwa v55, v36, v37 dst_sel:DWORD dst_unused:UNUSED_PAD src0_sel:DWORD src1_sel:WORD_1
	;; [unrolled: 1-line block ×3, first 2 shown]
	v_add_co_u32 v46, vcc_lo, s26, v42
	v_add_co_ci_u32_e32 v47, vcc_lo, s27, v43, vcc_lo
	v_mul_f16_sdwa v57, v28, v29 dst_sel:DWORD dst_unused:UNUSED_PAD src0_sel:DWORD src1_sel:WORD_1
	v_mul_f16_sdwa v58, v26, v27 dst_sel:DWORD dst_unused:UNUSED_PAD src0_sel:DWORD src1_sel:WORD_1
	s_clause 0x1
	global_load_dwordx4 v[42:45], v[46:47], off offset:128
	global_load_dword v46, v[46:47], off offset:144
	v_lshrrev_b32_e32 v47, 16, v26
	v_mul_f16_sdwa v59, v52, v41 dst_sel:DWORD dst_unused:UNUSED_PAD src0_sel:DWORD src1_sel:WORD_1
	v_fmac_f16_e32 v53, v52, v41
	v_mul_f16_sdwa v52, v51, v39 dst_sel:DWORD dst_unused:UNUSED_PAD src0_sel:DWORD src1_sel:WORD_1
	v_fmac_f16_e32 v54, v51, v39
	;; [unrolled: 2-line block ×6, first 2 shown]
	v_fma_f16 v40, v40, v41, -v59
	v_mul_f16_sdwa v41, v53, v35 dst_sel:DWORD dst_unused:UNUSED_PAD src0_sel:DWORD src1_sel:WORD_1
	v_fma_f16 v38, v38, v39, -v52
	v_mul_f16_sdwa v39, v54, v34 dst_sel:DWORD dst_unused:UNUSED_PAD src0_sel:DWORD src1_sel:WORD_1
	;; [unrolled: 2-line block ×12, first 2 shown]
	v_fmac_f16_e32 v40, v35, v53
	v_fmac_f16_e32 v38, v34, v54
	;; [unrolled: 1-line block ×6, first 2 shown]
	s_waitcnt vmcnt(1)
	v_mul_f16_sdwa v35, v18, v44 dst_sel:DWORD dst_unused:UNUSED_PAD src0_sel:DWORD src1_sel:WORD_1
	s_waitcnt vmcnt(0)
	v_mul_f16_sdwa v47, v17, v46 dst_sel:DWORD dst_unused:UNUSED_PAD src0_sel:DWORD src1_sel:WORD_1
	v_mul_f16_sdwa v48, v3, v44 dst_sel:DWORD dst_unused:UNUSED_PAD src0_sel:DWORD src1_sel:WORD_1
	;; [unrolled: 1-line block ×9, first 2 shown]
	v_fma_f16 v3, v3, v44, -v35
	v_fma_f16 v16, v16, v46, -v47
	v_fmac_f16_e32 v48, v18, v44
	v_fmac_f16_e32 v49, v17, v46
	v_fma_f16 v6, v6, v43, -v24
	v_fma_f16 v4, v4, v45, -v25
	v_fmac_f16_e32 v30, v23, v43
	v_fmac_f16_e32 v33, v21, v45
	v_fma_f16 v5, v5, v42, -v34
	v_fmac_f16_e32 v50, v20, v42
	v_add_f16_e32 v20, v3, v16
	v_add_f16_e32 v24, v48, v49
	v_sub_f16_e32 v17, v6, v4
	v_add_f16_e32 v18, v30, v33
	v_sub_f16_e32 v21, v48, v49
	v_sub_f16_e32 v23, v3, v16
	v_add_f16_e32 v25, v6, v4
	v_sub_f16_e32 v34, v30, v33
	v_add_f16_e32 v30, v22, v30
	v_add_f16_e32 v35, v50, v48
	;; [unrolled: 1-line block ×4, first 2 shown]
	v_fma_f16 v5, -0.5, v20, v5
	v_fma_f16 v20, -0.5, v24, v50
	;; [unrolled: 1-line block ×4, first 2 shown]
	v_add_f16_e32 v22, v30, v33
	v_add_f16_e32 v24, v35, v49
	;; [unrolled: 1-line block ×4, first 2 shown]
	v_fmamk_f16 v16, v21, 0xbaee, v5
	v_fmamk_f16 v25, v23, 0x3aee, v20
	v_fmac_f16_e32 v20, 0xbaee, v23
	v_fmac_f16_e32 v5, 0x3aee, v21
	v_fmamk_f16 v6, v17, 0x3aee, v18
	v_fmac_f16_e32 v18, 0xbaee, v17
	v_sub_f16_e32 v17, v22, v24
	v_sub_f16_e32 v21, v4, v3
	v_add_f16_e32 v22, v22, v24
	v_add_f16_e32 v3, v4, v3
	v_mul_f16_e32 v4, -0.5, v25
	v_mul_f16_e32 v23, -0.5, v16
	v_mul_f16_e32 v24, 0xbaee, v5
	v_mul_f16_e32 v33, 0x3aee, v20
	v_fmamk_f16 v30, v34, 0xbaee, v19
	v_fmac_f16_e32 v19, 0x3aee, v34
	v_mul_f16_e32 v35, v17, v36
	v_fmac_f16_e32 v4, 0xbaee, v16
	v_fmac_f16_e32 v23, 0x3aee, v25
	v_fmac_f16_e32 v24, 0.5, v20
	v_fmac_f16_e32 v33, 0.5, v5
	v_mul_f16_e32 v34, v21, v36
	v_mul_f16_e32 v36, v3, v26
	;; [unrolled: 1-line block ×3, first 2 shown]
	v_fma_f16 v5, v21, v37, -v35
	v_sub_f16_e32 v16, v6, v4
	v_sub_f16_e32 v20, v18, v24
	;; [unrolled: 1-line block ×3, first 2 shown]
	v_add_f16_e32 v4, v6, v4
	v_add_f16_e32 v6, v30, v23
	;; [unrolled: 1-line block ×4, first 2 shown]
	v_fmac_f16_e32 v34, v17, v37
	v_sub_f16_e32 v17, v30, v23
	v_fmac_f16_e32 v36, v22, v27
	v_fma_f16 v3, v3, v27, -v26
	v_mul_f16_e32 v26, v6, v31
	v_mul_f16_e32 v27, v4, v31
	;; [unrolled: 1-line block ×8, first 2 shown]
	v_fmac_f16_e32 v26, v4, v32
	v_fmac_f16_e32 v30, v18, v29
	v_fma_f16 v4, v19, v29, -v28
	v_fma_f16 v6, v6, v32, -v27
	v_fmac_f16_e32 v22, v16, v41
	v_fmac_f16_e32 v24, v20, v39
	v_fma_f16 v16, v21, v39, -v25
	v_fma_f16 v17, v17, v41, -v23
	v_pack_b32_f16 v3, v3, v36
	v_pack_b32_f16 v4, v4, v30
	;; [unrolled: 1-line block ×6, first 2 shown]
	ds_write_b32 v15, v3
	ds_write2_b32 v0, v4, v6 offset0:40 offset1:80
	ds_write2_b32 v0, v5, v16 offset0:120 offset1:160
	ds_write_b32 v0, v17 offset:800
.LBB0_19:
	s_or_b32 exec_lo, exec_lo, s4
	s_waitcnt lgkmcnt(0)
	s_barrier
	buffer_gl0_inv
	s_and_saveexec_b32 s4, s5
	s_cbranch_execz .LBB0_21
; %bb.20:
	v_mad_u64_u32 v[3:4], null, s2, v11, 0
	v_mad_u64_u32 v[5:6], null, s0, v12, 0
	v_add3_u32 v20, 0, v13, v14
	s_mul_i32 s4, s7, s24
	s_mul_hi_u32 s5, s6, s24
	s_mul_i32 s2, s6, s24
	v_mov_b32_e32 v0, v4
	v_mad_u64_u32 v[18:19], null, s0, v8, 0
	v_mov_b32_e32 v4, v6
	ds_read2_b32 v[16:17], v20 offset1:48
	v_mad_u64_u32 v[13:14], null, s3, v11, v[0:1]
	v_mad_u64_u32 v[14:15], null, s0, v10, 0
	;; [unrolled: 1-line block ×3, first 2 shown]
	s_add_i32 s3, s5, s4
	v_lshlrev_b64 v[0:1], 2, v[1:2]
	s_lshl_b64 s[2:3], s[2:3], 2
	v_mov_b32_e32 v4, v13
	s_add_u32 s2, s10, s2
	s_addc_u32 s3, s11, s3
	v_mov_b32_e32 v6, v11
	v_mad_u64_u32 v[11:12], null, s0, v9, 0
	v_mov_b32_e32 v2, v15
	v_add_co_u32 v15, vcc_lo, s2, v0
	v_add_co_ci_u32_e32 v21, vcc_lo, s3, v1, vcc_lo
	v_lshlrev_b64 v[0:1], 2, v[3:4]
	v_mov_b32_e32 v3, v12
	v_add_co_u32 v22, vcc_lo, v15, v0
	v_mad_u64_u32 v[12:13], null, s1, v10, v[2:3]
	v_mad_u64_u32 v[2:3], null, s1, v9, v[3:4]
	v_add_co_ci_u32_e32 v21, vcc_lo, v21, v1, vcc_lo
	v_lshlrev_b64 v[0:1], 2, v[5:6]
	v_mad_u64_u32 v[4:5], null, s0, v7, 0
	v_mov_b32_e32 v3, v19
	v_mov_b32_e32 v15, v12
	v_mov_b32_e32 v12, v2
	v_add_co_u32 v0, vcc_lo, v22, v0
	v_add_co_ci_u32_e32 v1, vcc_lo, v21, v1, vcc_lo
	v_mad_u64_u32 v[2:3], null, s1, v8, v[3:4]
	v_mov_b32_e32 v3, v5
	v_lshlrev_b64 v[10:11], 2, v[11:12]
	v_lshlrev_b64 v[5:6], 2, v[14:15]
	ds_read2_b32 v[8:9], v20 offset0:96 offset1:144
	v_mad_u64_u32 v[12:13], null, s1, v7, v[3:4]
	v_mov_b32_e32 v19, v2
	ds_read_b32 v13, v20 offset:768
	v_add_co_u32 v2, vcc_lo, v22, v5
	v_add_co_ci_u32_e32 v3, vcc_lo, v21, v6, vcc_lo
	v_mov_b32_e32 v5, v12
	v_lshlrev_b64 v[6:7], 2, v[18:19]
	v_add_co_u32 v10, vcc_lo, v22, v10
	v_add_co_ci_u32_e32 v11, vcc_lo, v21, v11, vcc_lo
	v_lshlrev_b64 v[4:5], 2, v[4:5]
	v_add_co_u32 v6, vcc_lo, v22, v6
	v_add_co_ci_u32_e32 v7, vcc_lo, v21, v7, vcc_lo
	v_add_co_u32 v4, vcc_lo, v22, v4
	v_add_co_ci_u32_e32 v5, vcc_lo, v21, v5, vcc_lo
	s_waitcnt lgkmcnt(2)
	global_store_dword v[0:1], v16, off
	global_store_dword v[2:3], v17, off
	s_waitcnt lgkmcnt(1)
	global_store_dword v[10:11], v8, off
	global_store_dword v[6:7], v9, off
	s_waitcnt lgkmcnt(0)
	global_store_dword v[4:5], v13, off
.LBB0_21:
	s_endpgm
	.section	.rodata,"a",@progbits
	.p2align	6, 0x0
	.amdhsa_kernel fft_rtc_fwd_len240_factors_8_5_6_wgs_384_tpt_48_half_op_CI_CI_sbcc_twdbase8_3step
		.amdhsa_group_segment_fixed_size 0
		.amdhsa_private_segment_fixed_size 0
		.amdhsa_kernarg_size 112
		.amdhsa_user_sgpr_count 6
		.amdhsa_user_sgpr_private_segment_buffer 1
		.amdhsa_user_sgpr_dispatch_ptr 0
		.amdhsa_user_sgpr_queue_ptr 0
		.amdhsa_user_sgpr_kernarg_segment_ptr 1
		.amdhsa_user_sgpr_dispatch_id 0
		.amdhsa_user_sgpr_flat_scratch_init 0
		.amdhsa_user_sgpr_private_segment_size 0
		.amdhsa_wavefront_size32 1
		.amdhsa_uses_dynamic_stack 0
		.amdhsa_system_sgpr_private_segment_wavefront_offset 0
		.amdhsa_system_sgpr_workgroup_id_x 1
		.amdhsa_system_sgpr_workgroup_id_y 0
		.amdhsa_system_sgpr_workgroup_id_z 0
		.amdhsa_system_sgpr_workgroup_info 0
		.amdhsa_system_vgpr_workitem_id 0
		.amdhsa_next_free_vgpr 60
		.amdhsa_next_free_sgpr 55
		.amdhsa_reserve_vcc 1
		.amdhsa_reserve_flat_scratch 0
		.amdhsa_float_round_mode_32 0
		.amdhsa_float_round_mode_16_64 0
		.amdhsa_float_denorm_mode_32 3
		.amdhsa_float_denorm_mode_16_64 3
		.amdhsa_dx10_clamp 1
		.amdhsa_ieee_mode 1
		.amdhsa_fp16_overflow 0
		.amdhsa_workgroup_processor_mode 1
		.amdhsa_memory_ordered 1
		.amdhsa_forward_progress 0
		.amdhsa_shared_vgpr_count 0
		.amdhsa_exception_fp_ieee_invalid_op 0
		.amdhsa_exception_fp_denorm_src 0
		.amdhsa_exception_fp_ieee_div_zero 0
		.amdhsa_exception_fp_ieee_overflow 0
		.amdhsa_exception_fp_ieee_underflow 0
		.amdhsa_exception_fp_ieee_inexact 0
		.amdhsa_exception_int_div_zero 0
	.end_amdhsa_kernel
	.text
.Lfunc_end0:
	.size	fft_rtc_fwd_len240_factors_8_5_6_wgs_384_tpt_48_half_op_CI_CI_sbcc_twdbase8_3step, .Lfunc_end0-fft_rtc_fwd_len240_factors_8_5_6_wgs_384_tpt_48_half_op_CI_CI_sbcc_twdbase8_3step
                                        ; -- End function
	.section	.AMDGPU.csdata,"",@progbits
; Kernel info:
; codeLenInByte = 5060
; NumSgprs: 57
; NumVgprs: 60
; ScratchSize: 0
; MemoryBound: 0
; FloatMode: 240
; IeeeMode: 1
; LDSByteSize: 0 bytes/workgroup (compile time only)
; SGPRBlocks: 7
; VGPRBlocks: 7
; NumSGPRsForWavesPerEU: 57
; NumVGPRsForWavesPerEU: 60
; Occupancy: 15
; WaveLimiterHint : 1
; COMPUTE_PGM_RSRC2:SCRATCH_EN: 0
; COMPUTE_PGM_RSRC2:USER_SGPR: 6
; COMPUTE_PGM_RSRC2:TRAP_HANDLER: 0
; COMPUTE_PGM_RSRC2:TGID_X_EN: 1
; COMPUTE_PGM_RSRC2:TGID_Y_EN: 0
; COMPUTE_PGM_RSRC2:TGID_Z_EN: 0
; COMPUTE_PGM_RSRC2:TIDIG_COMP_CNT: 0
	.text
	.p2alignl 6, 3214868480
	.fill 48, 4, 3214868480
	.type	__hip_cuid_7344943ef8676847,@object ; @__hip_cuid_7344943ef8676847
	.section	.bss,"aw",@nobits
	.globl	__hip_cuid_7344943ef8676847
__hip_cuid_7344943ef8676847:
	.byte	0                               ; 0x0
	.size	__hip_cuid_7344943ef8676847, 1

	.ident	"AMD clang version 19.0.0git (https://github.com/RadeonOpenCompute/llvm-project roc-6.4.0 25133 c7fe45cf4b819c5991fe208aaa96edf142730f1d)"
	.section	".note.GNU-stack","",@progbits
	.addrsig
	.addrsig_sym __hip_cuid_7344943ef8676847
	.amdgpu_metadata
---
amdhsa.kernels:
  - .args:
      - .actual_access:  read_only
        .address_space:  global
        .offset:         0
        .size:           8
        .value_kind:     global_buffer
      - .address_space:  global
        .offset:         8
        .size:           8
        .value_kind:     global_buffer
      - .offset:         16
        .size:           8
        .value_kind:     by_value
      - .actual_access:  read_only
        .address_space:  global
        .offset:         24
        .size:           8
        .value_kind:     global_buffer
      - .actual_access:  read_only
        .address_space:  global
        .offset:         32
        .size:           8
        .value_kind:     global_buffer
      - .actual_access:  read_only
        .address_space:  global
        .offset:         40
        .size:           8
        .value_kind:     global_buffer
      - .offset:         48
        .size:           8
        .value_kind:     by_value
      - .actual_access:  read_only
        .address_space:  global
        .offset:         56
        .size:           8
        .value_kind:     global_buffer
      - .actual_access:  read_only
        .address_space:  global
        .offset:         64
        .size:           8
        .value_kind:     global_buffer
      - .offset:         72
        .size:           4
        .value_kind:     by_value
      - .actual_access:  read_only
        .address_space:  global
        .offset:         80
        .size:           8
        .value_kind:     global_buffer
      - .actual_access:  read_only
        .address_space:  global
        .offset:         88
        .size:           8
        .value_kind:     global_buffer
      - .actual_access:  read_only
        .address_space:  global
        .offset:         96
        .size:           8
        .value_kind:     global_buffer
      - .actual_access:  write_only
        .address_space:  global
        .offset:         104
        .size:           8
        .value_kind:     global_buffer
    .group_segment_fixed_size: 0
    .kernarg_segment_align: 8
    .kernarg_segment_size: 112
    .language:       OpenCL C
    .language_version:
      - 2
      - 0
    .max_flat_workgroup_size: 384
    .name:           fft_rtc_fwd_len240_factors_8_5_6_wgs_384_tpt_48_half_op_CI_CI_sbcc_twdbase8_3step
    .private_segment_fixed_size: 0
    .sgpr_count:     57
    .sgpr_spill_count: 0
    .symbol:         fft_rtc_fwd_len240_factors_8_5_6_wgs_384_tpt_48_half_op_CI_CI_sbcc_twdbase8_3step.kd
    .uniform_work_group_size: 1
    .uses_dynamic_stack: false
    .vgpr_count:     60
    .vgpr_spill_count: 0
    .wavefront_size: 32
    .workgroup_processor_mode: 1
amdhsa.target:   amdgcn-amd-amdhsa--gfx1030
amdhsa.version:
  - 1
  - 2
...

	.end_amdgpu_metadata
